;; amdgpu-corpus repo=ROCm/rocFFT kind=compiled arch=gfx950 opt=O3
	.text
	.amdgcn_target "amdgcn-amd-amdhsa--gfx950"
	.amdhsa_code_object_version 6
	.protected	bluestein_single_fwd_len1000_dim1_dp_op_CI_CI ; -- Begin function bluestein_single_fwd_len1000_dim1_dp_op_CI_CI
	.globl	bluestein_single_fwd_len1000_dim1_dp_op_CI_CI
	.p2align	8
	.type	bluestein_single_fwd_len1000_dim1_dp_op_CI_CI,@function
bluestein_single_fwd_len1000_dim1_dp_op_CI_CI: ; @bluestein_single_fwd_len1000_dim1_dp_op_CI_CI
; %bb.0:
	s_load_dwordx4 s[16:19], s[0:1], 0x28
	v_mul_u32_u24_e32 v1, 0x290, v0
	v_add_u32_sdwa v128, s2, v1 dst_sel:DWORD dst_unused:UNUSED_PAD src0_sel:DWORD src1_sel:WORD_1
	v_mov_b32_e32 v129, 0
	s_waitcnt lgkmcnt(0)
	v_cmp_gt_u64_e32 vcc, s[16:17], v[128:129]
	s_and_saveexec_b64 s[2:3], vcc
	s_cbranch_execz .LBB0_2
; %bb.1:
	s_load_dwordx4 s[12:15], s[0:1], 0x18
	s_load_dwordx4 s[8:11], s[0:1], 0x0
	v_mov_b32_e32 v2, s18
	v_mov_b32_e32 v3, s19
	s_mov_b32 s19, 0xbfd3c6ef
	s_waitcnt lgkmcnt(0)
	s_load_dwordx4 s[4:7], s[14:15], 0x0
	s_mov_b32 s16, 0x9b97f4a8
	s_load_dwordx4 s[12:15], s[12:13], 0x0
	s_mov_b32 s17, 0x3fe9e377
	s_mov_b32 s21, 0xbfe9e377
	s_waitcnt lgkmcnt(0)
	v_mad_u64_u32 v[130:131], s[2:3], s6, v128, 0
	v_mad_u64_u32 v[4:5], s[2:3], s14, v128, 0
	v_mov_b32_e32 v6, v131
	v_mad_u64_u32 v[132:133], s[2:3], s7, v128, v[6:7]
	v_mov_b32_e32 v6, v5
	v_mad_u64_u32 v[6:7], s[2:3], s15, v128, v[6:7]
	s_movk_i32 s2, 0x64
	s_nop 0
	v_mul_lo_u16_sdwa v1, v1, s2 dst_sel:DWORD dst_unused:UNUSED_PAD src0_sel:WORD_1 src1_sel:DWORD
	v_sub_u16_e32 v164, v0, v1
	v_mad_u64_u32 v[0:1], s[2:3], s12, v164, 0
	v_mov_b32_e32 v5, v6
	v_mov_b32_e32 v6, v1
	v_mad_u64_u32 v[6:7], s[2:3], s13, v164, v[6:7]
	v_lshlrev_b32_e32 v128, 4, v164
	v_mov_b32_e32 v1, v6
	v_lshl_add_u64 v[2:3], v[4:5], 4, v[2:3]
	s_movk_i32 s2, 0x1000
	v_lshl_add_u64 v[134:135], s[8:9], 0, v[128:129]
	v_lshl_add_u64 v[0:1], v[0:1], 4, v[2:3]
	v_add_co_u32_e32 v2, vcc, s2, v134
	v_mov_b32_e32 v133, 0x640
	s_movk_i32 s3, 0x2000
	v_addc_co_u32_e32 v3, vcc, 0, v135, vcc
	global_load_dwordx4 v[40:43], v[0:1], off
	s_mul_i32 s7, s13, 0x640
	v_add_co_u32_e32 v4, vcc, s3, v134
	v_mad_u64_u32 v[0:1], s[2:3], s12, v133, v[0:1]
	v_add_u32_e32 v1, s7, v1
	global_load_dwordx4 v[36:39], v128, s[8:9]
	global_load_dwordx4 v[32:35], v128, s[8:9] offset:1600
	global_load_dwordx4 v[24:27], v128, s[8:9] offset:3200
	global_load_dwordx4 v[44:47], v[0:1], off
	v_mad_u64_u32 v[0:1], s[2:3], s12, v133, v[0:1]
	v_add_u32_e32 v1, s7, v1
	global_load_dwordx4 v[48:51], v[0:1], off
	v_mad_u64_u32 v[0:1], s[2:3], s12, v133, v[0:1]
	v_add_u32_e32 v1, s7, v1
	global_load_dwordx4 v[52:55], v[0:1], off
	global_load_dwordx4 v[28:31], v[2:3], off offset:704
	global_load_dwordx4 v[20:23], v[2:3], off offset:2304
	v_mad_u64_u32 v[0:1], s[2:3], s12, v133, v[0:1]
	v_add_u32_e32 v1, s7, v1
	global_load_dwordx4 v[56:59], v[0:1], off
	v_mad_u64_u32 v[0:1], s[2:3], s12, v133, v[0:1]
	v_add_u32_e32 v1, s7, v1
	v_addc_co_u32_e32 v5, vcc, 0, v135, vcc
	global_load_dwordx4 v[60:63], v[0:1], off
	global_load_dwordx4 v[16:19], v[2:3], off offset:3904
	global_load_dwordx4 v[12:15], v[4:5], off offset:1408
	v_mad_u64_u32 v[0:1], s[2:3], s12, v133, v[0:1]
	v_add_u32_e32 v1, s7, v1
	global_load_dwordx4 v[64:67], v[0:1], off
	v_mad_u64_u32 v[6:7], s[2:3], s12, v133, v[0:1]
	s_movk_i32 s6, 0x3000
	v_add_u32_e32 v7, s7, v7
	v_add_co_u32_e32 v116, vcc, s6, v134
	v_mad_u64_u32 v[76:77], s[2:3], s12, v133, v[6:7]
	s_nop 0
	v_addc_co_u32_e32 v117, vcc, 0, v135, vcc
	global_load_dwordx4 v[68:71], v[6:7], off
	global_load_dwordx4 v[8:11], v[4:5], off offset:3008
	global_load_dwordx4 v[0:3], v[116:117], off offset:512
	v_add_u32_e32 v77, s7, v77
	global_load_dwordx4 v[72:75], v[76:77], off
	global_load_dwordx4 v[4:7], v[116:117], off offset:2112
	v_mad_u64_u32 v[76:77], s[2:3], s12, v133, v[76:77]
	v_add_u32_e32 v77, s7, v77
	global_load_dwordx4 v[76:79], v[76:77], off
	s_mov_b32 s2, 0x134454ff
	s_mov_b32 s3, 0x3fee6f0e
	;; [unrolled: 1-line block ×12, first 2 shown]
	s_movk_i32 s22, 0xcd
	s_load_dwordx2 s[0:1], s[0:1], 0x38
	s_waitcnt vmcnt(18)
	v_mul_f64 v[80:81], v[42:43], v[38:39]
	v_mul_f64 v[82:83], v[40:41], v[38:39]
	v_fmac_f64_e32 v[80:81], v[40:41], v[36:37]
	s_waitcnt vmcnt(15)
	v_mul_f64 v[40:41], v[44:45], v[34:35]
	v_fma_f64 v[82:83], v[42:43], v[36:37], -v[82:83]
	v_fma_f64 v[42:43], v[46:47], v[32:33], -v[40:41]
	v_mul_f64 v[40:41], v[46:47], v[34:35]
	v_fmac_f64_e32 v[40:41], v[44:45], v[32:33]
	ds_write_b128 v128, v[40:43] offset:1600
	s_waitcnt vmcnt(14)
	v_mul_f64 v[40:41], v[50:51], v[26:27]
	v_mul_f64 v[42:43], v[48:49], v[26:27]
	v_fmac_f64_e32 v[40:41], v[48:49], v[24:25]
	v_fma_f64 v[42:43], v[50:51], v[24:25], -v[42:43]
	ds_write_b128 v128, v[40:43] offset:3200
	s_waitcnt vmcnt(12)
	v_mul_f64 v[40:41], v[54:55], v[30:31]
	v_mul_f64 v[42:43], v[52:53], v[30:31]
	v_fmac_f64_e32 v[40:41], v[52:53], v[28:29]
	v_fma_f64 v[42:43], v[54:55], v[28:29], -v[42:43]
	;; [unrolled: 6-line block ×5, first 2 shown]
	ds_write_b128 v128, v[40:43] offset:9600
	ds_write_b128 v128, v[80:83]
	s_waitcnt vmcnt(4)
	v_mul_f64 v[40:41], v[70:71], v[10:11]
	v_mul_f64 v[42:43], v[68:69], v[10:11]
	v_fmac_f64_e32 v[40:41], v[68:69], v[8:9]
	v_fma_f64 v[42:43], v[70:71], v[8:9], -v[42:43]
	ds_write_b128 v128, v[40:43] offset:11200
	s_waitcnt vmcnt(2)
	v_mul_f64 v[40:41], v[74:75], v[2:3]
	v_mul_f64 v[42:43], v[72:73], v[2:3]
	v_fmac_f64_e32 v[40:41], v[72:73], v[0:1]
	v_fma_f64 v[42:43], v[74:75], v[0:1], -v[42:43]
	ds_write_b128 v128, v[40:43] offset:12800
	;; [unrolled: 6-line block ×3, first 2 shown]
	s_waitcnt lgkmcnt(0)
	s_barrier
	ds_read_b128 v[40:43], v128 offset:4800
	ds_read_b128 v[44:47], v128 offset:8000
	;; [unrolled: 1-line block ×5, first 2 shown]
	ds_read_b128 v[60:63], v128
	ds_read_b128 v[64:67], v128 offset:3200
	s_waitcnt lgkmcnt(5)
	v_add_f64 v[90:91], v[44:45], -v[40:41]
	s_waitcnt lgkmcnt(4)
	v_add_f64 v[94:95], v[46:47], v[50:51]
	s_waitcnt lgkmcnt(3)
	v_add_f64 v[92:93], v[48:49], -v[52:53]
	v_add_f64 v[96:97], v[42:43], v[54:55]
	v_add_f64 v[90:91], v[90:91], v[92:93]
	s_waitcnt lgkmcnt(2)
	v_add_f64 v[92:93], v[58:59], v[42:43]
	v_fma_f64 v[94:95], -0.5, v[94:95], v[58:59]
	v_fmac_f64_e32 v[58:59], -0.5, v[96:97]
	v_add_f64 v[96:97], v[46:47], -v[42:43]
	v_add_f64 v[98:99], v[50:51], -v[54:55]
	ds_read_b128 v[68:71], v128 offset:6400
	ds_read_b128 v[72:75], v128 offset:9600
	v_add_f64 v[76:77], v[44:45], v[48:49]
	v_add_f64 v[88:89], v[40:41], v[52:53]
	;; [unrolled: 1-line block ×3, first 2 shown]
	v_add_f64 v[98:99], v[44:45], -v[48:49]
	v_add_f64 v[80:81], v[56:57], v[40:41]
	v_fma_f64 v[82:83], -0.5, v[76:77], v[56:57]
	ds_read_b128 v[76:79], v128 offset:12800
	v_add_f64 v[86:87], v[46:47], -v[50:51]
	v_fmac_f64_e32 v[56:57], -0.5, v[88:89]
	v_fma_f64 v[100:101], s[2:3], v[98:99], v[58:59]
	v_fmac_f64_e32 v[58:59], s[12:13], v[98:99]
	v_add_f64 v[102:103], v[40:41], -v[52:53]
	v_add_f64 v[84:85], v[42:43], -v[54:55]
	v_fma_f64 v[88:89], s[12:13], v[86:87], v[56:57]
	v_fmac_f64_e32 v[56:57], s[2:3], v[86:87]
	v_fmac_f64_e32 v[58:59], s[6:7], v[102:103]
	v_fmac_f64_e32 v[56:57], s[14:15], v[84:85]
	v_fmac_f64_e32 v[58:59], s[8:9], v[96:97]
	v_fmac_f64_e32 v[56:57], s[8:9], v[90:91]
	v_mul_f64 v[106:107], v[58:59], s[18:19]
	v_mul_f64 v[104:105], v[56:57], s[18:19]
	v_fmac_f64_e32 v[106:107], s[12:13], v[56:57]
	s_waitcnt lgkmcnt(1)
	v_add_f64 v[56:57], v[68:69], v[72:73]
	v_fma_f64 v[108:109], -0.5, v[56:57], v[60:61]
	s_waitcnt lgkmcnt(0)
	v_add_f64 v[56:57], v[64:65], v[76:77]
	v_fmac_f64_e32 v[104:105], s[2:3], v[58:59]
	v_add_f64 v[110:111], v[60:61], v[64:65]
	v_fmac_f64_e32 v[60:61], -0.5, v[56:57]
	v_add_f64 v[56:57], v[68:69], -v[64:65]
	v_add_f64 v[58:59], v[72:73], -v[76:77]
	v_add_f64 v[112:113], v[56:57], v[58:59]
	v_add_f64 v[56:57], v[70:71], v[74:75]
	v_fma_f64 v[114:115], -0.5, v[56:57], v[62:63]
	v_add_f64 v[118:119], v[62:63], v[66:67]
	v_add_f64 v[56:57], v[66:67], v[78:79]
	v_fmac_f64_e32 v[62:63], -0.5, v[56:57]
	v_add_f64 v[56:57], v[70:71], -v[66:67]
	v_add_f64 v[122:123], v[70:71], -v[74:75]
	;; [unrolled: 1-line block ×7, first 2 shown]
	v_add_f64 v[68:69], v[110:111], v[68:69]
	v_add_f64 v[70:71], v[118:119], v[70:71]
	;; [unrolled: 1-line block ×4, first 2 shown]
	v_add_f64 v[58:59], v[74:75], -v[78:79]
	v_add_f64 v[72:73], v[76:77], -v[72:73]
	;; [unrolled: 1-line block ×3, first 2 shown]
	v_add_f64 v[68:69], v[68:69], v[76:77]
	v_add_f64 v[70:71], v[70:71], v[78:79]
	v_add_f64 v[76:77], v[40:41], -v[44:45]
	v_add_f64 v[78:79], v[42:43], -v[46:47]
	v_add_f64 v[40:41], v[80:81], v[44:45]
	v_add_f64 v[42:43], v[92:93], v[46:47]
	v_add_f64 v[40:41], v[40:41], v[48:49]
	v_add_f64 v[42:43], v[42:43], v[50:51]
	v_add_f64 v[48:49], v[52:53], -v[48:49]
	v_add_f64 v[50:51], v[54:55], -v[50:51]
	v_add_f64 v[76:77], v[76:77], v[48:49]
	v_add_f64 v[78:79], v[78:79], v[50:51]
	v_fma_f64 v[48:49], s[2:3], v[84:85], v[82:83]
	v_fma_f64 v[50:51], s[12:13], v[102:103], v[94:95]
	v_fmac_f64_e32 v[82:83], s[12:13], v[84:85]
	v_fmac_f64_e32 v[94:95], s[2:3], v[102:103]
	;; [unrolled: 1-line block ×7, first 2 shown]
	v_fma_f64 v[124:125], s[12:13], v[122:123], v[60:61]
	v_fmac_f64_e32 v[60:61], s[2:3], v[122:123]
	v_fma_f64 v[138:139], s[2:3], v[136:137], v[62:63]
	v_fmac_f64_e32 v[62:63], s[12:13], v[136:137]
	v_add_f64 v[44:45], v[40:41], v[52:53]
	v_add_f64 v[46:47], v[42:43], v[54:55]
	;; [unrolled: 1-line block ×4, first 2 shown]
	v_fmac_f64_e32 v[48:49], s[8:9], v[76:77]
	v_fmac_f64_e32 v[50:51], s[14:15], v[98:99]
	v_fma_f64 v[64:65], s[2:3], v[126:127], v[108:109]
	v_fma_f64 v[66:67], s[12:13], v[140:141], v[114:115]
	v_fmac_f64_e32 v[88:89], s[8:9], v[90:91]
	v_fmac_f64_e32 v[100:101], s[8:9], v[96:97]
	;; [unrolled: 1-line block ×6, first 2 shown]
	v_add_f64 v[120:121], v[56:57], v[58:59]
	v_fmac_f64_e32 v[60:61], s[14:15], v[126:127]
	v_fmac_f64_e32 v[62:63], s[6:7], v[140:141]
	v_add_f64 v[40:41], v[68:69], v[44:45]
	v_add_f64 v[42:43], v[70:71], v[46:47]
	v_add_f64 v[44:45], v[68:69], -v[44:45]
	v_add_f64 v[46:47], v[70:71], -v[46:47]
	v_fmac_f64_e32 v[50:51], s[8:9], v[78:79]
	v_mul_f64 v[52:53], v[48:49], s[16:17]
	v_mul_f64 v[54:55], v[48:49], s[14:15]
	v_fmac_f64_e32 v[64:65], s[6:7], v[122:123]
	v_fmac_f64_e32 v[66:67], s[14:15], v[136:137]
	;; [unrolled: 1-line block ×4, first 2 shown]
	v_mul_f64 v[68:69], v[100:101], s[2:3]
	v_mul_f64 v[70:71], v[88:89], s[12:13]
	v_fmac_f64_e32 v[108:109], s[14:15], v[122:123]
	v_fmac_f64_e32 v[114:115], s[6:7], v[136:137]
	v_mul_f64 v[76:77], v[82:83], s[20:21]
	v_mul_f64 v[78:79], v[94:95], s[20:21]
	v_mul_lo_u16_e32 v80, 10, v164
	v_fmac_f64_e32 v[60:61], s[8:9], v[112:113]
	v_fmac_f64_e32 v[62:63], s[8:9], v[120:121]
	;; [unrolled: 1-line block ×14, first 2 shown]
	v_lshlrev_b32_e32 v129, 4, v80
	v_add_f64 v[56:57], v[60:61], v[104:105]
	v_add_f64 v[58:59], v[62:63], v[106:107]
	v_add_f64 v[60:61], v[60:61], -v[104:105]
	v_add_f64 v[62:63], v[62:63], -v[106:107]
	v_add_f64 v[48:49], v[64:65], v[52:53]
	v_add_f64 v[50:51], v[66:67], v[54:55]
	v_add_f64 v[52:53], v[64:65], -v[52:53]
	v_add_f64 v[54:55], v[66:67], -v[54:55]
	;; [unrolled: 4-line block ×4, first 2 shown]
	s_barrier
	ds_write_b128 v129, v[40:43]
	ds_write_b128 v129, v[48:51] offset:16
	ds_write_b128 v129, v[64:67] offset:32
	;; [unrolled: 1-line block ×9, first 2 shown]
	v_mul_lo_u16_sdwa v40, v164, s22 dst_sel:DWORD dst_unused:UNUSED_PAD src0_sel:BYTE_0 src1_sel:DWORD
	v_lshrrev_b16_e32 v122, 11, v40
	v_mul_lo_u16_e32 v40, 10, v122
	v_sub_u16_e32 v40, v164, v40
	v_and_b32_e32 v123, 0xff, v40
	s_movk_i32 s22, 0x90
	v_mov_b64_e32 v[80:81], s[10:11]
	v_mad_u64_u32 v[76:77], s[10:11], v123, s22, v[80:81]
	s_waitcnt lgkmcnt(0)
	s_barrier
	global_load_dwordx4 v[52:55], v[76:77], off
	global_load_dwordx4 v[48:51], v[76:77], off offset:16
	global_load_dwordx4 v[44:47], v[76:77], off offset:32
	;; [unrolled: 1-line block ×8, first 2 shown]
	ds_read_b128 v[82:85], v128 offset:1600
	ds_read_b128 v[86:89], v128 offset:3200
	;; [unrolled: 1-line block ×3, first 2 shown]
	ds_read_b128 v[76:79], v128
	ds_read_b128 v[96:99], v128 offset:6400
	ds_read_b128 v[102:105], v128 offset:8000
	;; [unrolled: 1-line block ×5, first 2 shown]
	s_waitcnt vmcnt(8) lgkmcnt(8)
	v_mul_f64 v[90:91], v[84:85], v[54:55]
	v_fma_f64 v[136:137], v[82:83], v[52:53], -v[90:91]
	v_mul_f64 v[138:139], v[82:83], v[54:55]
	s_waitcnt vmcnt(7) lgkmcnt(7)
	v_mul_f64 v[82:83], v[88:89], v[50:51]
	v_fma_f64 v[90:91], v[86:87], v[48:49], -v[82:83]
	v_mul_f64 v[86:87], v[86:87], v[50:51]
	s_waitcnt vmcnt(6) lgkmcnt(6)
	v_mul_f64 v[82:83], v[94:95], v[46:47]
	v_fmac_f64_e32 v[138:139], v[84:85], v[52:53]
	v_fmac_f64_e32 v[86:87], v[88:89], v[48:49]
	v_fma_f64 v[88:89], v[92:93], v[44:45], -v[82:83]
	v_mul_f64 v[84:85], v[92:93], v[46:47]
	s_waitcnt vmcnt(5) lgkmcnt(4)
	v_mul_f64 v[82:83], v[98:99], v[42:43]
	s_waitcnt vmcnt(4) lgkmcnt(3)
	v_mul_f64 v[92:93], v[102:103], v[58:59]
	v_fma_f64 v[100:101], v[96:97], v[40:41], -v[82:83]
	v_mul_f64 v[82:83], v[104:105], v[58:59]
	v_fmac_f64_e32 v[92:93], v[104:105], v[56:57]
	s_waitcnt vmcnt(3) lgkmcnt(2)
	v_mul_f64 v[104:105], v[110:111], v[62:63]
	v_fmac_f64_e32 v[84:85], v[94:95], v[44:45]
	v_mul_f64 v[94:95], v[96:97], v[42:43]
	v_fma_f64 v[96:97], v[102:103], v[56:57], -v[82:83]
	v_mul_f64 v[82:83], v[112:113], v[62:63]
	v_fmac_f64_e32 v[104:105], v[112:113], v[60:61]
	ds_read_b128 v[112:115], v128 offset:12800
	v_fma_f64 v[108:109], v[110:111], v[60:61], -v[82:83]
	s_waitcnt vmcnt(2) lgkmcnt(2)
	v_mul_f64 v[82:83], v[120:121], v[66:67]
	v_fma_f64 v[106:107], v[118:119], v[64:65], -v[82:83]
	v_mul_f64 v[102:103], v[118:119], v[66:67]
	s_waitcnt vmcnt(1) lgkmcnt(0)
	v_mul_f64 v[82:83], v[114:115], v[70:71]
	v_fma_f64 v[118:119], v[112:113], v[68:69], -v[82:83]
	v_mul_f64 v[112:113], v[112:113], v[70:71]
	s_waitcnt vmcnt(0)
	v_mul_f64 v[82:83], v[126:127], v[74:75]
	v_fmac_f64_e32 v[94:95], v[98:99], v[40:41]
	v_fmac_f64_e32 v[112:113], v[114:115], v[68:69]
	v_fma_f64 v[114:115], v[124:125], v[72:73], -v[82:83]
	v_add_f64 v[82:83], v[100:101], v[108:109]
	v_add_f64 v[98:99], v[90:91], v[118:119]
	v_fmac_f64_e32 v[102:103], v[120:121], v[64:65]
	v_fma_f64 v[82:83], -0.5, v[82:83], v[76:77]
	v_add_f64 v[140:141], v[76:77], v[90:91]
	v_fmac_f64_e32 v[76:77], -0.5, v[98:99]
	v_add_f64 v[98:99], v[100:101], -v[90:91]
	v_add_f64 v[120:121], v[108:109], -v[118:119]
	v_mul_f64 v[110:111], v[124:125], v[74:75]
	v_add_f64 v[120:121], v[98:99], v[120:121]
	v_add_f64 v[98:99], v[94:95], v[104:105]
	;; [unrolled: 1-line block ×3, first 2 shown]
	v_fmac_f64_e32 v[110:111], v[126:127], v[72:73]
	v_fma_f64 v[98:99], -0.5, v[98:99], v[78:79]
	v_add_f64 v[142:143], v[78:79], v[86:87]
	v_fmac_f64_e32 v[78:79], -0.5, v[124:125]
	v_add_f64 v[124:125], v[94:95], -v[86:87]
	v_add_f64 v[126:127], v[104:105], -v[112:113]
	v_add_f64 v[144:145], v[124:125], v[126:127]
	v_add_f64 v[124:125], v[96:97], v[106:107]
	v_fma_f64 v[146:147], -0.5, v[124:125], v[136:137]
	v_add_f64 v[124:125], v[88:89], v[114:115]
	v_add_f64 v[148:149], v[136:137], v[88:89]
	v_fmac_f64_e32 v[136:137], -0.5, v[124:125]
	v_add_f64 v[124:125], v[96:97], -v[88:89]
	v_add_f64 v[126:127], v[106:107], -v[114:115]
	v_add_f64 v[150:151], v[124:125], v[126:127]
	v_add_f64 v[124:125], v[92:93], v[102:103]
	v_fma_f64 v[152:153], -0.5, v[124:125], v[138:139]
	v_add_f64 v[124:125], v[84:85], v[110:111]
	v_add_f64 v[158:159], v[92:93], -v[102:103]
	v_add_f64 v[154:155], v[138:139], v[84:85]
	v_fmac_f64_e32 v[138:139], -0.5, v[124:125]
	v_fma_f64 v[160:161], s[12:13], v[158:159], v[136:137]
	v_fmac_f64_e32 v[136:137], s[2:3], v[158:159]
	v_add_f64 v[162:163], v[84:85], -v[110:111]
	v_add_f64 v[166:167], v[96:97], -v[106:107]
	;; [unrolled: 1-line block ×4, first 2 shown]
	v_fmac_f64_e32 v[136:137], s[14:15], v[162:163]
	v_fma_f64 v[168:169], s[2:3], v[166:167], v[138:139]
	v_fmac_f64_e32 v[138:139], s[12:13], v[166:167]
	v_add_f64 v[170:171], v[88:89], -v[114:115]
	v_add_f64 v[156:157], v[124:125], v[126:127]
	v_fmac_f64_e32 v[136:137], s[8:9], v[150:151]
	v_fmac_f64_e32 v[138:139], s[6:7], v[170:171]
	;; [unrolled: 1-line block ×3, first 2 shown]
	v_mul_f64 v[172:173], v[136:137], s[18:19]
	v_fmac_f64_e32 v[172:173], s[2:3], v[138:139]
	v_mul_f64 v[138:139], v[138:139], s[18:19]
	v_fmac_f64_e32 v[138:139], s[12:13], v[136:137]
	v_add_f64 v[136:137], v[140:141], v[100:101]
	v_add_f64 v[180:181], v[100:101], -v[108:109]
	v_add_f64 v[184:185], v[90:91], -v[118:119]
	v_add_f64 v[136:137], v[136:137], v[108:109]
	v_add_f64 v[90:91], v[90:91], -v[100:101]
	v_add_f64 v[100:101], v[118:119], -v[108:109]
	;; [unrolled: 1-line block ×3, first 2 shown]
	v_add_f64 v[140:141], v[136:137], v[118:119]
	v_add_f64 v[136:137], v[142:143], v[94:95]
	;; [unrolled: 1-line block ×3, first 2 shown]
	v_add_f64 v[86:87], v[86:87], -v[94:95]
	v_add_f64 v[90:91], v[112:113], -v[104:105]
	;; [unrolled: 1-line block ×3, first 2 shown]
	v_add_f64 v[136:137], v[136:137], v[104:105]
	v_add_f64 v[104:105], v[86:87], v[90:91]
	v_add_f64 v[86:87], v[88:89], -v[96:97]
	v_add_f64 v[88:89], v[114:115], -v[106:107]
	v_add_f64 v[142:143], v[136:137], v[112:113]
	v_add_f64 v[136:137], v[148:149], v[96:97]
	;; [unrolled: 1-line block ×3, first 2 shown]
	v_add_f64 v[84:85], v[84:85], -v[92:93]
	v_add_f64 v[86:87], v[110:111], -v[102:103]
	v_add_f64 v[136:137], v[136:137], v[106:107]
	v_add_f64 v[106:107], v[84:85], v[86:87]
	v_fma_f64 v[84:85], s[2:3], v[162:163], v[146:147]
	v_fmac_f64_e32 v[146:147], s[12:13], v[162:163]
	v_fma_f64 v[86:87], s[12:13], v[170:171], v[152:153]
	v_fmac_f64_e32 v[146:147], s[14:15], v[158:159]
	v_fmac_f64_e32 v[152:153], s[2:3], v[170:171]
	v_add_f64 v[148:149], v[136:137], v[114:115]
	v_add_f64 v[136:137], v[154:155], v[92:93]
	v_fmac_f64_e32 v[84:85], s[6:7], v[158:159]
	v_fmac_f64_e32 v[86:87], s[14:15], v[166:167]
	v_fma_f64 v[92:93], s[2:3], v[178:179], v[82:83]
	v_fmac_f64_e32 v[160:161], s[6:7], v[162:163]
	v_fmac_f64_e32 v[168:169], s[14:15], v[170:171]
	;; [unrolled: 1-line block ×5, first 2 shown]
	v_fma_f64 v[176:177], s[12:13], v[174:175], v[76:77]
	v_fmac_f64_e32 v[76:77], s[2:3], v[174:175]
	v_fma_f64 v[182:183], s[2:3], v[180:181], v[78:79]
	v_fmac_f64_e32 v[78:79], s[12:13], v[180:181]
	v_fmac_f64_e32 v[84:85], s[8:9], v[96:97]
	;; [unrolled: 1-line block ×4, first 2 shown]
	v_fma_f64 v[94:95], s[12:13], v[184:185], v[98:99]
	v_fmac_f64_e32 v[160:161], s[8:9], v[150:151]
	v_fmac_f64_e32 v[168:169], s[8:9], v[156:157]
	;; [unrolled: 1-line block ×5, first 2 shown]
	v_mul_f64 v[96:97], v[146:147], s[20:21]
	v_fmac_f64_e32 v[76:77], s[14:15], v[178:179]
	v_fmac_f64_e32 v[78:79], s[6:7], v[184:185]
	v_add_f64 v[136:137], v[136:137], v[102:103]
	v_mul_f64 v[88:89], v[86:87], s[6:7]
	v_mul_f64 v[90:91], v[84:85], s[14:15]
	v_fmac_f64_e32 v[92:93], s[8:9], v[108:109]
	v_fmac_f64_e32 v[94:95], s[14:15], v[180:181]
	;; [unrolled: 1-line block ×4, first 2 shown]
	v_mul_f64 v[100:101], v[168:169], s[2:3]
	v_mul_f64 v[102:103], v[160:161], s[12:13]
	v_fmac_f64_e32 v[82:83], s[8:9], v[108:109]
	v_fmac_f64_e32 v[98:99], s[6:7], v[180:181]
	v_fmac_f64_e32 v[96:97], s[6:7], v[152:153]
	v_mul_f64 v[108:109], v[152:153], s[20:21]
	v_fmac_f64_e32 v[76:77], s[8:9], v[120:121]
	v_fmac_f64_e32 v[78:79], s[8:9], v[144:145]
	v_add_f64 v[154:155], v[136:137], v[110:111]
	v_fmac_f64_e32 v[88:89], s[16:17], v[84:85]
	v_fmac_f64_e32 v[90:91], s[16:17], v[86:87]
	;; [unrolled: 1-line block ×9, first 2 shown]
	v_add_f64 v[104:105], v[82:83], v[96:97]
	v_add_f64 v[96:97], v[82:83], -v[96:97]
	v_mul_u32_u24_e32 v82, 0x64, v122
	v_add_f64 v[124:125], v[76:77], v[172:173]
	v_add_f64 v[126:127], v[78:79], v[138:139]
	v_add_f64 v[76:77], v[76:77], -v[172:173]
	v_add_f64 v[78:79], v[78:79], -v[138:139]
	v_add_f64 v[136:137], v[140:141], v[148:149]
	v_add_f64 v[138:139], v[142:143], v[154:155]
	;; [unrolled: 1-line block ×4, first 2 shown]
	v_add_f64 v[88:89], v[92:93], -v[88:89]
	v_add_f64 v[90:91], v[94:95], -v[90:91]
	v_add_f64 v[92:93], v[176:177], v[100:101]
	v_add_f64 v[94:95], v[182:183], v[102:103]
	v_add_f64 v[100:101], v[176:177], -v[100:101]
	v_add_f64 v[102:103], v[182:183], -v[102:103]
	v_add_f64 v[106:107], v[98:99], v[108:109]
	v_add_f64 v[98:99], v[98:99], -v[108:109]
	v_add_lshl_u32 v131, v82, v123, 4
	v_mad_u64_u32 v[112:113], s[10:11], v164, s22, v[80:81]
	v_add_f64 v[140:141], v[140:141], -v[148:149]
	v_add_f64 v[142:143], v[142:143], -v[154:155]
	s_barrier
	ds_write_b128 v131, v[136:139]
	ds_write_b128 v131, v[84:87] offset:160
	ds_write_b128 v131, v[92:95] offset:320
	ds_write_b128 v131, v[124:127] offset:480
	ds_write_b128 v131, v[104:107] offset:640
	ds_write_b128 v131, v[140:143] offset:800
	ds_write_b128 v131, v[88:91] offset:960
	ds_write_b128 v131, v[100:103] offset:1120
	ds_write_b128 v131, v[76:79] offset:1280
	ds_write_b128 v131, v[96:99] offset:1440
	s_waitcnt lgkmcnt(0)
	s_barrier
	global_load_dwordx4 v[76:79], v[112:113], off offset:1440
	global_load_dwordx4 v[80:83], v[112:113], off offset:1456
	;; [unrolled: 1-line block ×9, first 2 shown]
	ds_read_b128 v[118:121], v128 offset:1600
	ds_read_b128 v[112:115], v128
	ds_read_b128 v[122:125], v128 offset:3200
	ds_read_b128 v[136:139], v128 offset:4800
	;; [unrolled: 1-line block ×8, first 2 shown]
	s_mov_b64 s[10:11], 0x3e80
	s_waitcnt vmcnt(8) lgkmcnt(9)
	v_mul_f64 v[126:127], v[120:121], v[78:79]
	v_fma_f64 v[174:175], v[118:119], v[76:77], -v[126:127]
	v_mul_f64 v[176:177], v[118:119], v[78:79]
	s_waitcnt vmcnt(7) lgkmcnt(7)
	v_mul_f64 v[118:119], v[124:125], v[82:83]
	v_fma_f64 v[126:127], v[122:123], v[80:81], -v[118:119]
	v_mul_f64 v[122:123], v[122:123], v[82:83]
	s_waitcnt vmcnt(6) lgkmcnt(6)
	v_mul_f64 v[118:119], v[138:139], v[86:87]
	v_fmac_f64_e32 v[122:123], v[124:125], v[80:81]
	v_fma_f64 v[124:125], v[136:137], v[84:85], -v[118:119]
	s_waitcnt vmcnt(5) lgkmcnt(5)
	v_mul_f64 v[118:119], v[142:143], v[90:91]
	v_fmac_f64_e32 v[176:177], v[120:121], v[76:77]
	v_mul_f64 v[120:121], v[136:137], v[86:87]
	v_fma_f64 v[144:145], v[140:141], v[88:89], -v[118:119]
	s_waitcnt vmcnt(4) lgkmcnt(4)
	v_mul_f64 v[118:119], v[148:149], v[94:95]
	v_fmac_f64_e32 v[120:121], v[138:139], v[84:85]
	v_mul_f64 v[138:139], v[140:141], v[90:91]
	v_fma_f64 v[140:141], v[146:147], v[92:93], -v[118:119]
	s_waitcnt vmcnt(3) lgkmcnt(3)
	v_mul_f64 v[118:119], v[156:157], v[98:99]
	v_fma_f64 v[152:153], v[154:155], v[96:97], -v[118:119]
	s_waitcnt vmcnt(2) lgkmcnt(2)
	v_mul_f64 v[118:119], v[160:161], v[102:103]
	v_mul_f64 v[136:137], v[146:147], v[94:95]
	v_fma_f64 v[150:151], v[158:159], v[100:101], -v[118:119]
	v_mul_f64 v[146:147], v[158:159], v[102:103]
	s_waitcnt vmcnt(1) lgkmcnt(1)
	v_mul_f64 v[118:119], v[168:169], v[106:107]
	v_fmac_f64_e32 v[136:137], v[148:149], v[92:93]
	v_mul_f64 v[148:149], v[154:155], v[98:99]
	v_fmac_f64_e32 v[146:147], v[160:161], v[100:101]
	v_fma_f64 v[160:161], v[166:167], v[104:105], -v[118:119]
	s_waitcnt vmcnt(0) lgkmcnt(0)
	v_mul_f64 v[118:119], v[172:173], v[110:111]
	v_fmac_f64_e32 v[138:139], v[142:143], v[88:89]
	v_fmac_f64_e32 v[148:149], v[156:157], v[96:97]
	v_mul_f64 v[156:157], v[166:167], v[106:107]
	v_fma_f64 v[158:159], v[170:171], v[108:109], -v[118:119]
	v_add_f64 v[118:119], v[144:145], v[152:153]
	v_add_f64 v[142:143], v[126:127], v[160:161]
	v_fmac_f64_e32 v[156:157], v[168:169], v[104:105]
	v_mul_f64 v[154:155], v[170:171], v[110:111]
	v_fma_f64 v[118:119], -0.5, v[118:119], v[112:113]
	v_add_f64 v[170:171], v[112:113], v[126:127]
	v_fmac_f64_e32 v[112:113], -0.5, v[142:143]
	v_add_f64 v[142:143], v[144:145], -v[126:127]
	v_add_f64 v[162:163], v[152:153], -v[160:161]
	v_add_f64 v[162:163], v[142:143], v[162:163]
	v_add_f64 v[142:143], v[138:139], v[148:149]
	;; [unrolled: 1-line block ×3, first 2 shown]
	v_fmac_f64_e32 v[154:155], v[172:173], v[108:109]
	v_fma_f64 v[142:143], -0.5, v[142:143], v[114:115]
	v_add_f64 v[172:173], v[114:115], v[122:123]
	v_fmac_f64_e32 v[114:115], -0.5, v[166:167]
	v_add_f64 v[166:167], v[138:139], -v[122:123]
	v_add_f64 v[168:169], v[148:149], -v[156:157]
	v_add_f64 v[178:179], v[166:167], v[168:169]
	v_add_f64 v[166:167], v[140:141], v[150:151]
	v_fma_f64 v[180:181], -0.5, v[166:167], v[174:175]
	v_add_f64 v[166:167], v[124:125], v[158:159]
	v_add_f64 v[182:183], v[174:175], v[124:125]
	v_fmac_f64_e32 v[174:175], -0.5, v[166:167]
	v_add_f64 v[166:167], v[140:141], -v[124:125]
	v_add_f64 v[168:169], v[150:151], -v[158:159]
	v_add_f64 v[184:185], v[166:167], v[168:169]
	v_add_f64 v[166:167], v[136:137], v[146:147]
	v_fma_f64 v[186:187], -0.5, v[166:167], v[176:177]
	v_add_f64 v[166:167], v[120:121], v[154:155]
	v_add_f64 v[192:193], v[136:137], -v[146:147]
	v_add_f64 v[188:189], v[176:177], v[120:121]
	v_fmac_f64_e32 v[176:177], -0.5, v[166:167]
	v_fma_f64 v[194:195], s[12:13], v[192:193], v[174:175]
	v_fmac_f64_e32 v[174:175], s[2:3], v[192:193]
	v_add_f64 v[196:197], v[120:121], -v[154:155]
	v_add_f64 v[198:199], v[140:141], -v[150:151]
	;; [unrolled: 1-line block ×4, first 2 shown]
	v_fmac_f64_e32 v[174:175], s[14:15], v[196:197]
	v_fma_f64 v[200:201], s[2:3], v[198:199], v[176:177]
	v_fmac_f64_e32 v[176:177], s[12:13], v[198:199]
	v_add_f64 v[202:203], v[124:125], -v[158:159]
	v_add_f64 v[190:191], v[166:167], v[168:169]
	v_fmac_f64_e32 v[174:175], s[8:9], v[184:185]
	v_fmac_f64_e32 v[176:177], s[6:7], v[202:203]
	;; [unrolled: 1-line block ×3, first 2 shown]
	v_mul_f64 v[204:205], v[174:175], s[18:19]
	v_add_f64 v[212:213], v[144:145], -v[152:153]
	v_add_f64 v[170:171], v[170:171], v[144:145]
	v_fmac_f64_e32 v[204:205], s[2:3], v[176:177]
	v_mul_f64 v[176:177], v[176:177], s[18:19]
	v_fma_f64 v[214:215], s[2:3], v[212:213], v[114:115]
	v_fmac_f64_e32 v[114:115], s[12:13], v[212:213]
	v_add_f64 v[216:217], v[126:127], -v[160:161]
	v_add_f64 v[170:171], v[170:171], v[152:153]
	v_add_f64 v[126:127], v[126:127], -v[144:145]
	v_add_f64 v[144:145], v[160:161], -v[152:153]
	v_fmac_f64_e32 v[176:177], s[12:13], v[174:175]
	v_add_f64 v[210:211], v[122:123], -v[156:157]
	v_fmac_f64_e32 v[114:115], s[6:7], v[216:217]
	v_add_f64 v[174:175], v[170:171], v[160:161]
	v_add_f64 v[170:171], v[172:173], v[138:139]
	;; [unrolled: 1-line block ×3, first 2 shown]
	v_add_f64 v[122:123], v[122:123], -v[138:139]
	v_add_f64 v[126:127], v[156:157], -v[148:149]
	;; [unrolled: 1-line block ×3, first 2 shown]
	v_fmac_f64_e32 v[114:115], s[8:9], v[178:179]
	v_add_f64 v[170:171], v[170:171], v[148:149]
	v_add_f64 v[148:149], v[122:123], v[126:127]
	v_add_f64 v[122:123], v[124:125], -v[140:141]
	v_add_f64 v[124:125], v[158:159], -v[150:151]
	v_add_f64 v[168:169], v[114:115], v[176:177]
	v_add_f64 v[114:115], v[114:115], -v[176:177]
	v_add_f64 v[176:177], v[170:171], v[156:157]
	v_add_f64 v[170:171], v[182:183], v[140:141]
	;; [unrolled: 1-line block ×3, first 2 shown]
	v_add_f64 v[120:121], v[120:121], -v[136:137]
	v_add_f64 v[122:123], v[154:155], -v[146:147]
	v_add_f64 v[170:171], v[170:171], v[150:151]
	v_add_f64 v[150:151], v[120:121], v[122:123]
	v_fma_f64 v[120:121], s[2:3], v[196:197], v[180:181]
	v_fma_f64 v[122:123], s[12:13], v[202:203], v[186:187]
	v_fmac_f64_e32 v[180:181], s[12:13], v[196:197]
	v_fmac_f64_e32 v[186:187], s[2:3], v[202:203]
	v_fma_f64 v[208:209], s[12:13], v[206:207], v[112:113]
	v_fmac_f64_e32 v[112:113], s[2:3], v[206:207]
	v_add_f64 v[182:183], v[170:171], v[158:159]
	v_add_f64 v[170:171], v[188:189], v[136:137]
	v_fmac_f64_e32 v[120:121], s[6:7], v[192:193]
	v_fmac_f64_e32 v[122:123], s[14:15], v[198:199]
	v_fma_f64 v[136:137], s[2:3], v[210:211], v[118:119]
	v_fmac_f64_e32 v[194:195], s[6:7], v[196:197]
	v_fmac_f64_e32 v[200:201], s[14:15], v[202:203]
	;; [unrolled: 1-line block ×6, first 2 shown]
	v_add_f64 v[170:171], v[170:171], v[146:147]
	v_fmac_f64_e32 v[120:121], s[8:9], v[140:141]
	v_fmac_f64_e32 v[122:123], s[8:9], v[150:151]
	;; [unrolled: 1-line block ×3, first 2 shown]
	v_fma_f64 v[138:139], s[12:13], v[216:217], v[142:143]
	v_fmac_f64_e32 v[194:195], s[8:9], v[184:185]
	v_fmac_f64_e32 v[200:201], s[8:9], v[190:191]
	;; [unrolled: 1-line block ×7, first 2 shown]
	v_add_f64 v[188:189], v[170:171], v[154:155]
	v_mul_f64 v[124:125], v[122:123], s[6:7]
	v_mul_f64 v[126:127], v[120:121], s[14:15]
	v_fmac_f64_e32 v[136:137], s[8:9], v[152:153]
	v_fmac_f64_e32 v[138:139], s[14:15], v[212:213]
	v_fmac_f64_e32 v[208:209], s[6:7], v[210:211]
	v_fmac_f64_e32 v[214:215], s[14:15], v[216:217]
	v_mul_f64 v[144:145], v[200:201], s[2:3]
	v_mul_f64 v[146:147], v[194:195], s[12:13]
	v_fmac_f64_e32 v[118:119], s[8:9], v[152:153]
	v_fmac_f64_e32 v[142:143], s[6:7], v[212:213]
	v_mul_f64 v[140:141], v[180:181], s[20:21]
	v_mul_f64 v[152:153], v[186:187], s[20:21]
	v_add_f64 v[166:167], v[112:113], v[204:205]
	v_add_f64 v[112:113], v[112:113], -v[204:205]
	v_add_f64 v[170:171], v[174:175], v[182:183]
	v_add_f64 v[172:173], v[176:177], v[188:189]
	v_fmac_f64_e32 v[124:125], s[16:17], v[120:121]
	v_fmac_f64_e32 v[126:127], s[16:17], v[122:123]
	;; [unrolled: 1-line block ×10, first 2 shown]
	v_add_f64 v[174:175], v[174:175], -v[182:183]
	v_add_f64 v[176:177], v[176:177], -v[188:189]
	v_add_f64 v[120:121], v[136:137], v[124:125]
	v_add_f64 v[122:123], v[138:139], v[126:127]
	v_add_f64 v[124:125], v[136:137], -v[124:125]
	v_add_f64 v[126:127], v[138:139], -v[126:127]
	v_add_f64 v[136:137], v[208:209], v[144:145]
	v_add_f64 v[138:139], v[214:215], v[146:147]
	;; [unrolled: 4-line block ×3, first 2 shown]
	v_add_f64 v[140:141], v[118:119], -v[140:141]
	v_add_f64 v[142:143], v[142:143], -v[152:153]
	ds_write_b128 v128, v[170:173]
	ds_write_b128 v128, v[120:123] offset:1600
	ds_write_b128 v128, v[136:139] offset:3200
	;; [unrolled: 1-line block ×9, first 2 shown]
	s_waitcnt lgkmcnt(0)
	s_barrier
	global_load_dwordx4 v[112:115], v[116:117], off offset:3712
	v_lshl_add_u64 v[120:121], v[134:135], 0, s[10:11]
	global_load_dwordx4 v[116:119], v[120:121], off offset:1600
	s_nop 0
	global_load_dwordx4 v[120:123], v[120:121], off offset:3200
	s_movk_i32 s10, 0x5000
	v_add_co_u32_e32 v140, vcc, s10, v134
	s_movk_i32 s10, 0x6000
	s_nop 0
	v_addc_co_u32_e32 v141, vcc, 0, v135, vcc
	global_load_dwordx4 v[124:127], v[140:141], off offset:320
	global_load_dwordx4 v[136:139], v[140:141], off offset:1920
	s_nop 0
	global_load_dwordx4 v[140:143], v[140:141], off offset:3520
	v_add_co_u32_e32 v148, vcc, s10, v134
	s_movk_i32 s10, 0x7000
	s_nop 0
	v_addc_co_u32_e32 v149, vcc, 0, v135, vcc
	global_load_dwordx4 v[144:147], v[148:149], off offset:1024
	s_nop 0
	global_load_dwordx4 v[148:151], v[148:149], off offset:2624
	v_add_co_u32_e32 v134, vcc, s10, v134
	s_nop 1
	v_addc_co_u32_e32 v135, vcc, 0, v135, vcc
	global_load_dwordx4 v[152:155], v[134:135], off offset:128
	global_load_dwordx4 v[156:159], v[134:135], off offset:1728
	ds_read_b128 v[160:163], v128
	ds_read_b128 v[166:169], v128 offset:1600
	s_waitcnt vmcnt(9) lgkmcnt(1)
	v_mul_f64 v[134:135], v[162:163], v[114:115]
	v_mul_f64 v[172:173], v[160:161], v[114:115]
	v_fma_f64 v[170:171], v[160:161], v[112:113], -v[134:135]
	v_fmac_f64_e32 v[172:173], v[162:163], v[112:113]
	s_waitcnt vmcnt(8) lgkmcnt(0)
	v_mul_f64 v[134:135], v[168:169], v[118:119]
	ds_read_b128 v[112:115], v128 offset:3200
	v_mul_f64 v[162:163], v[166:167], v[118:119]
	v_fma_f64 v[160:161], v[166:167], v[116:117], -v[134:135]
	v_fmac_f64_e32 v[162:163], v[168:169], v[116:117]
	ds_read_b128 v[116:119], v128 offset:4800
	s_waitcnt vmcnt(7) lgkmcnt(1)
	v_mul_f64 v[134:135], v[114:115], v[122:123]
	v_mul_f64 v[168:169], v[112:113], v[122:123]
	v_fma_f64 v[166:167], v[112:113], v[120:121], -v[134:135]
	v_fmac_f64_e32 v[168:169], v[114:115], v[120:121]
	s_waitcnt vmcnt(6) lgkmcnt(0)
	v_mul_f64 v[120:121], v[118:119], v[126:127]
	ds_read_b128 v[112:115], v128 offset:6400
	v_mul_f64 v[122:123], v[116:117], v[126:127]
	v_fma_f64 v[120:121], v[116:117], v[124:125], -v[120:121]
	v_fmac_f64_e32 v[122:123], v[118:119], v[124:125]
	;; [unrolled: 12-line block ×4, first 2 shown]
	ds_read_b128 v[116:119], v128 offset:14400
	s_waitcnt vmcnt(1) lgkmcnt(1)
	v_mul_f64 v[146:147], v[114:115], v[154:155]
	v_mul_f64 v[148:149], v[112:113], v[154:155]
	v_fma_f64 v[146:147], v[112:113], v[152:153], -v[146:147]
	v_fmac_f64_e32 v[148:149], v[114:115], v[152:153]
	s_waitcnt vmcnt(0) lgkmcnt(0)
	v_mul_f64 v[112:113], v[118:119], v[158:159]
	v_mul_f64 v[114:115], v[116:117], v[158:159]
	v_fma_f64 v[112:113], v[116:117], v[156:157], -v[112:113]
	v_fmac_f64_e32 v[114:115], v[118:119], v[156:157]
	ds_write_b128 v128, v[170:173]
	ds_write_b128 v128, v[160:163] offset:1600
	ds_write_b128 v128, v[166:169] offset:3200
	;; [unrolled: 1-line block ×9, first 2 shown]
	s_waitcnt lgkmcnt(0)
	s_barrier
	ds_read_b128 v[112:115], v128 offset:11200
	ds_read_b128 v[116:119], v128 offset:1600
	ds_read_b128 v[120:123], v128 offset:8000
	ds_read_b128 v[124:127], v128 offset:4800
	ds_read_b128 v[134:137], v128 offset:14400
	ds_read_b128 v[138:141], v128 offset:6400
	ds_read_b128 v[142:145], v128 offset:9600
	s_waitcnt lgkmcnt(4)
	v_add_f64 v[150:151], v[120:121], v[112:113]
	v_fma_f64 v[158:159], -0.5, v[150:151], v[116:117]
	s_waitcnt lgkmcnt(2)
	v_add_f64 v[162:163], v[124:125], v[134:135]
	v_add_f64 v[160:161], v[116:117], v[124:125]
	v_fmac_f64_e32 v[116:117], -0.5, v[162:163]
	v_add_f64 v[162:163], v[120:121], -v[124:125]
	v_add_f64 v[166:167], v[112:113], -v[134:135]
	v_add_f64 v[162:163], v[162:163], v[166:167]
	v_add_f64 v[166:167], v[122:123], v[114:115]
	;; [unrolled: 1-line block ×3, first 2 shown]
	v_fma_f64 v[166:167], -0.5, v[166:167], v[118:119]
	v_add_f64 v[168:169], v[118:119], v[126:127]
	v_fmac_f64_e32 v[118:119], -0.5, v[170:171]
	v_add_f64 v[170:171], v[122:123], -v[126:127]
	v_add_f64 v[172:173], v[114:115], -v[136:137]
	;; [unrolled: 1-line block ×3, first 2 shown]
	ds_read_b128 v[146:149], v128
	ds_read_b128 v[150:153], v128 offset:3200
	ds_read_b128 v[154:157], v128 offset:12800
	v_add_f64 v[170:171], v[170:171], v[172:173]
	v_add_f64 v[172:173], v[122:123], -v[114:115]
	v_fma_f64 v[180:181], s[12:13], v[178:179], v[118:119]
	v_fmac_f64_e32 v[118:119], s[2:3], v[178:179]
	v_add_f64 v[182:183], v[124:125], -v[134:135]
	v_fma_f64 v[174:175], s[2:3], v[172:173], v[116:117]
	v_fmac_f64_e32 v[116:117], s[12:13], v[172:173]
	v_add_f64 v[176:177], v[126:127], -v[136:137]
	v_fmac_f64_e32 v[118:119], s[14:15], v[182:183]
	v_fmac_f64_e32 v[116:117], s[6:7], v[176:177]
	;; [unrolled: 1-line block ×4, first 2 shown]
	v_mul_f64 v[184:185], v[118:119], s[12:13]
	v_mul_f64 v[186:187], v[118:119], s[18:19]
	v_fmac_f64_e32 v[184:185], s[18:19], v[116:117]
	v_fmac_f64_e32 v[186:187], s[2:3], v[116:117]
	s_waitcnt lgkmcnt(3)
	v_add_f64 v[116:117], v[138:139], v[142:143]
	s_waitcnt lgkmcnt(2)
	v_fma_f64 v[188:189], -0.5, v[116:117], v[146:147]
	s_waitcnt lgkmcnt(0)
	v_add_f64 v[116:117], v[150:151], v[154:155]
	v_add_f64 v[190:191], v[146:147], v[150:151]
	v_fmac_f64_e32 v[146:147], -0.5, v[116:117]
	v_add_f64 v[116:117], v[138:139], -v[150:151]
	v_add_f64 v[118:119], v[142:143], -v[154:155]
	v_add_f64 v[192:193], v[116:117], v[118:119]
	v_add_f64 v[116:117], v[140:141], v[144:145]
	v_fma_f64 v[194:195], -0.5, v[116:117], v[148:149]
	v_add_f64 v[196:197], v[148:149], v[152:153]
	v_add_f64 v[116:117], v[152:153], v[156:157]
	v_fmac_f64_e32 v[148:149], -0.5, v[116:117]
	v_add_f64 v[116:117], v[140:141], -v[152:153]
	v_add_f64 v[200:201], v[140:141], -v[144:145]
	;; [unrolled: 1-line block ×7, first 2 shown]
	v_add_f64 v[138:139], v[190:191], v[138:139]
	v_add_f64 v[140:141], v[196:197], v[140:141]
	;; [unrolled: 1-line block ×4, first 2 shown]
	v_add_f64 v[118:119], v[144:145], -v[156:157]
	v_add_f64 v[142:143], v[154:155], -v[142:143]
	;; [unrolled: 1-line block ×3, first 2 shown]
	v_add_f64 v[138:139], v[138:139], v[154:155]
	v_add_f64 v[140:141], v[140:141], v[156:157]
	v_add_f64 v[124:125], v[124:125], -v[120:121]
	v_add_f64 v[126:127], v[126:127], -v[122:123]
	v_add_f64 v[120:121], v[160:161], v[120:121]
	v_add_f64 v[122:123], v[168:169], v[122:123]
	v_add_f64 v[154:155], v[134:135], -v[112:113]
	v_add_f64 v[156:157], v[136:137], -v[114:115]
	v_add_f64 v[120:121], v[120:121], v[112:113]
	v_add_f64 v[122:123], v[122:123], v[114:115]
	;; [unrolled: 1-line block ×4, first 2 shown]
	v_fma_f64 v[124:125], s[12:13], v[176:177], v[158:159]
	v_fma_f64 v[126:127], s[2:3], v[182:183], v[166:167]
	v_fmac_f64_e32 v[166:167], s[12:13], v[182:183]
	v_fma_f64 v[202:203], s[2:3], v[200:201], v[146:147]
	v_fmac_f64_e32 v[146:147], s[12:13], v[200:201]
	;; [unrolled: 2-line block ×3, first 2 shown]
	v_add_f64 v[120:121], v[120:121], v[134:135]
	v_add_f64 v[122:123], v[122:123], v[136:137]
	v_fmac_f64_e32 v[124:125], s[14:15], v[172:173]
	v_fmac_f64_e32 v[126:127], s[6:7], v[178:179]
	;; [unrolled: 1-line block ×5, first 2 shown]
	v_add_f64 v[198:199], v[116:117], v[118:119]
	v_fmac_f64_e32 v[146:147], s[6:7], v[204:205]
	v_fmac_f64_e32 v[148:149], s[14:15], v[210:211]
	v_add_f64 v[112:113], v[138:139], v[120:121]
	v_add_f64 v[114:115], v[140:141], v[122:123]
	v_add_f64 v[120:121], v[138:139], -v[120:121]
	v_add_f64 v[122:123], v[140:141], -v[122:123]
	v_fmac_f64_e32 v[124:125], s[8:9], v[154:155]
	v_fmac_f64_e32 v[126:127], s[8:9], v[156:157]
	v_fma_f64 v[138:139], s[12:13], v[204:205], v[188:189]
	v_fma_f64 v[140:141], s[2:3], v[210:211], v[194:195]
	v_fmac_f64_e32 v[174:175], s[14:15], v[176:177]
	v_fmac_f64_e32 v[180:181], s[8:9], v[170:171]
	;; [unrolled: 1-line block ×8, first 2 shown]
	v_add_f64 v[150:151], v[150:151], v[142:143]
	v_add_f64 v[152:153], v[152:153], v[144:145]
	v_mul_f64 v[134:135], v[126:127], s[14:15]
	v_mul_f64 v[136:137], v[124:125], s[6:7]
	v_fmac_f64_e32 v[138:139], s[14:15], v[200:201]
	v_fmac_f64_e32 v[140:141], s[6:7], v[206:207]
	;; [unrolled: 1-line block ×5, first 2 shown]
	v_mul_f64 v[142:143], v[180:181], s[12:13]
	v_mul_f64 v[144:145], v[180:181], s[8:9]
	v_fmac_f64_e32 v[188:189], s[6:7], v[200:201]
	v_fmac_f64_e32 v[194:195], s[14:15], v[206:207]
	v_fmac_f64_e32 v[158:159], s[8:9], v[154:155]
	v_mul_f64 v[154:155], v[166:167], s[14:15]
	v_mul_f64 v[156:157], v[166:167], s[20:21]
	v_add_f64 v[116:117], v[146:147], v[184:185]
	v_add_f64 v[118:119], v[148:149], v[186:187]
	v_fmac_f64_e32 v[134:135], s[16:17], v[124:125]
	v_fmac_f64_e32 v[136:137], s[16:17], v[126:127]
	;; [unrolled: 1-line block ×12, first 2 shown]
	v_add_f64 v[146:147], v[146:147], -v[184:185]
	v_add_f64 v[148:149], v[148:149], -v[186:187]
	v_add_f64 v[124:125], v[138:139], v[134:135]
	v_add_f64 v[126:127], v[140:141], v[136:137]
	v_add_f64 v[134:135], v[138:139], -v[134:135]
	v_add_f64 v[136:137], v[140:141], -v[136:137]
	v_add_f64 v[138:139], v[202:203], v[142:143]
	v_add_f64 v[140:141], v[208:209], v[144:145]
	;; [unrolled: 4-line block ×3, first 2 shown]
	v_add_f64 v[154:155], v[188:189], -v[154:155]
	v_add_f64 v[156:157], v[194:195], -v[156:157]
	s_barrier
	ds_write_b128 v129, v[112:115]
	ds_write_b128 v129, v[124:127] offset:16
	ds_write_b128 v129, v[138:141] offset:32
	;; [unrolled: 1-line block ×9, first 2 shown]
	s_waitcnt lgkmcnt(0)
	s_barrier
	ds_read_b128 v[116:119], v128 offset:1600
	ds_read_b128 v[112:115], v128
	ds_read_b128 v[120:123], v128 offset:3200
	ds_read_b128 v[124:127], v128 offset:8000
	ds_read_b128 v[134:137], v128 offset:12800
	s_waitcnt lgkmcnt(4)
	v_mul_f64 v[138:139], v[54:55], v[118:119]
	v_mul_f64 v[54:55], v[54:55], v[116:117]
	v_fmac_f64_e32 v[138:139], v[52:53], v[116:117]
	v_fma_f64 v[140:141], v[52:53], v[118:119], -v[54:55]
	ds_read_b128 v[116:119], v128 offset:4800
	s_waitcnt lgkmcnt(3)
	v_mul_f64 v[52:53], v[50:51], v[122:123]
	v_mul_f64 v[50:51], v[50:51], v[120:121]
	v_fmac_f64_e32 v[52:53], v[48:49], v[120:121]
	v_fma_f64 v[50:51], v[48:49], v[122:123], -v[50:51]
	ds_read_b128 v[120:123], v128 offset:6400
	s_waitcnt lgkmcnt(1)
	v_mul_f64 v[48:49], v[46:47], v[118:119]
	v_fmac_f64_e32 v[48:49], v[44:45], v[116:117]
	v_mul_f64 v[46:47], v[46:47], v[116:117]
	v_fma_f64 v[44:45], v[44:45], v[118:119], -v[46:47]
	s_waitcnt lgkmcnt(0)
	v_mul_f64 v[54:55], v[42:43], v[122:123]
	v_mul_f64 v[42:43], v[42:43], v[120:121]
	v_fmac_f64_e32 v[54:55], v[40:41], v[120:121]
	v_fma_f64 v[116:117], v[40:41], v[122:123], -v[42:43]
	v_mul_f64 v[42:43], v[58:59], v[126:127]
	v_mul_f64 v[40:41], v[58:59], v[124:125]
	ds_read_b128 v[120:123], v128 offset:9600
	v_fmac_f64_e32 v[42:43], v[56:57], v[124:125]
	v_fma_f64 v[46:47], v[56:57], v[126:127], -v[40:41]
	ds_read_b128 v[124:127], v128 offset:11200
	s_waitcnt lgkmcnt(1)
	v_mul_f64 v[40:41], v[62:63], v[120:121]
	v_mul_f64 v[118:119], v[62:63], v[122:123]
	v_fma_f64 v[62:63], v[60:61], v[122:123], -v[40:41]
	s_waitcnt lgkmcnt(0)
	v_mul_f64 v[58:59], v[66:67], v[126:127]
	v_fmac_f64_e32 v[58:59], v[64:65], v[124:125]
	v_mul_f64 v[40:41], v[66:67], v[124:125]
	ds_read_b128 v[122:125], v128 offset:14400
	v_fmac_f64_e32 v[118:119], v[60:61], v[120:121]
	v_fma_f64 v[60:61], v[64:65], v[126:127], -v[40:41]
	v_mul_f64 v[120:121], v[70:71], v[136:137]
	v_mul_f64 v[40:41], v[70:71], v[134:135]
	v_fmac_f64_e32 v[120:121], v[68:69], v[134:135]
	v_fma_f64 v[68:69], v[68:69], v[136:137], -v[40:41]
	s_waitcnt lgkmcnt(0)
	v_mul_f64 v[40:41], v[74:75], v[122:123]
	v_mul_f64 v[64:65], v[74:75], v[124:125]
	v_fma_f64 v[66:67], v[72:73], v[124:125], -v[40:41]
	v_add_f64 v[40:41], v[54:55], v[118:119]
	v_add_f64 v[56:57], v[52:53], v[120:121]
	v_fmac_f64_e32 v[64:65], v[72:73], v[122:123]
	v_fma_f64 v[40:41], -0.5, v[40:41], v[112:113]
	v_add_f64 v[122:123], v[112:113], v[52:53]
	v_fmac_f64_e32 v[112:113], -0.5, v[56:57]
	v_add_f64 v[56:57], v[54:55], -v[52:53]
	v_add_f64 v[70:71], v[118:119], -v[120:121]
	v_add_f64 v[70:71], v[56:57], v[70:71]
	v_add_f64 v[56:57], v[116:117], v[62:63]
	;; [unrolled: 1-line block ×3, first 2 shown]
	v_fma_f64 v[56:57], -0.5, v[56:57], v[114:115]
	v_add_f64 v[124:125], v[114:115], v[50:51]
	v_fmac_f64_e32 v[114:115], -0.5, v[72:73]
	v_add_f64 v[72:73], v[116:117], -v[50:51]
	v_add_f64 v[74:75], v[62:63], -v[68:69]
	v_add_f64 v[126:127], v[72:73], v[74:75]
	v_add_f64 v[72:73], v[42:43], v[58:59]
	v_fma_f64 v[142:143], -0.5, v[72:73], v[138:139]
	v_add_f64 v[72:73], v[48:49], v[64:65]
	v_add_f64 v[134:135], v[138:139], v[48:49]
	v_fmac_f64_e32 v[138:139], -0.5, v[72:73]
	v_add_f64 v[72:73], v[42:43], -v[48:49]
	v_add_f64 v[74:75], v[58:59], -v[64:65]
	v_add_f64 v[144:145], v[72:73], v[74:75]
	v_add_f64 v[72:73], v[46:47], v[60:61]
	v_fma_f64 v[146:147], -0.5, v[72:73], v[140:141]
	v_add_f64 v[72:73], v[44:45], v[66:67]
	v_add_f64 v[136:137], v[140:141], v[44:45]
	v_fmac_f64_e32 v[140:141], -0.5, v[72:73]
	v_add_f64 v[156:157], v[42:43], -v[58:59]
	v_add_f64 v[72:73], v[46:47], -v[44:45]
	;; [unrolled: 1-line block ×4, first 2 shown]
	v_fma_f64 v[158:159], s[12:13], v[156:157], v[140:141]
	v_fmac_f64_e32 v[140:141], s[2:3], v[156:157]
	v_add_f64 v[160:161], v[48:49], -v[64:65]
	v_add_f64 v[148:149], v[72:73], v[74:75]
	v_fma_f64 v[152:153], s[2:3], v[150:151], v[138:139]
	v_fmac_f64_e32 v[138:139], s[12:13], v[150:151]
	v_add_f64 v[154:155], v[44:45], -v[66:67]
	v_fmac_f64_e32 v[140:141], s[14:15], v[160:161]
	v_fmac_f64_e32 v[138:139], s[6:7], v[154:155]
	;; [unrolled: 1-line block ×3, first 2 shown]
	v_add_f64 v[170:171], v[54:55], -v[118:119]
	v_fmac_f64_e32 v[138:139], s[8:9], v[144:145]
	v_mul_f64 v[162:163], v[140:141], s[12:13]
	v_mul_f64 v[140:141], v[140:141], s[18:19]
	v_fma_f64 v[172:173], s[12:13], v[170:171], v[114:115]
	v_fmac_f64_e32 v[114:115], s[2:3], v[170:171]
	v_add_f64 v[174:175], v[52:53], -v[120:121]
	v_fmac_f64_e32 v[162:163], s[18:19], v[138:139]
	v_fmac_f64_e32 v[140:141], s[2:3], v[138:139]
	v_add_f64 v[138:139], v[116:117], -v[62:63]
	v_fmac_f64_e32 v[114:115], s[14:15], v[174:175]
	v_add_f64 v[122:123], v[122:123], v[54:55]
	v_fma_f64 v[166:167], s[2:3], v[138:139], v[112:113]
	v_fmac_f64_e32 v[112:113], s[12:13], v[138:139]
	v_add_f64 v[168:169], v[50:51], -v[68:69]
	v_fmac_f64_e32 v[114:115], s[8:9], v[126:127]
	v_add_f64 v[122:123], v[122:123], v[118:119]
	v_fmac_f64_e32 v[112:113], s[6:7], v[168:169]
	v_add_f64 v[74:75], v[114:115], v[140:141]
	v_add_f64 v[114:115], v[114:115], -v[140:141]
	v_add_f64 v[140:141], v[122:123], v[120:121]
	v_add_f64 v[122:123], v[124:125], v[116:117]
	v_fmac_f64_e32 v[112:113], s[8:9], v[70:71]
	v_add_f64 v[122:123], v[122:123], v[62:63]
	v_add_f64 v[72:73], v[112:113], v[162:163]
	v_add_f64 v[112:113], v[112:113], -v[162:163]
	v_add_f64 v[162:163], v[122:123], v[68:69]
	v_add_f64 v[122:123], v[134:135], v[42:43]
	;; [unrolled: 1-line block ×5, first 2 shown]
	v_add_f64 v[42:43], v[48:49], -v[42:43]
	v_add_f64 v[48:49], v[64:65], -v[58:59]
	v_add_f64 v[122:123], v[122:123], v[60:61]
	v_add_f64 v[64:65], v[42:43], v[48:49]
	v_add_f64 v[42:43], v[44:45], -v[46:47]
	v_add_f64 v[44:45], v[66:67], -v[60:61]
	v_add_f64 v[136:137], v[122:123], v[66:67]
	v_add_f64 v[52:53], v[52:53], -v[54:55]
	v_add_f64 v[54:55], v[120:121], -v[118:119]
	v_add_f64 v[66:67], v[42:43], v[44:45]
	v_fma_f64 v[44:45], s[2:3], v[160:161], v[146:147]
	v_add_f64 v[54:55], v[52:53], v[54:55]
	v_add_f64 v[50:51], v[50:51], -v[116:117]
	v_add_f64 v[52:53], v[68:69], -v[62:63]
	v_fma_f64 v[42:43], s[12:13], v[154:155], v[142:143]
	v_fmac_f64_e32 v[44:45], s[6:7], v[156:157]
	v_fmac_f64_e32 v[146:147], s[12:13], v[160:161]
	v_add_f64 v[62:63], v[50:51], v[52:53]
	v_fmac_f64_e32 v[42:43], s[14:15], v[150:151]
	v_fmac_f64_e32 v[44:45], s[8:9], v[66:67]
	v_fma_f64 v[50:51], s[12:13], v[168:169], v[40:41]
	v_fma_f64 v[52:53], s[2:3], v[174:175], v[56:57]
	v_fmac_f64_e32 v[158:159], s[6:7], v[160:161]
	v_fmac_f64_e32 v[40:41], s[2:3], v[168:169]
	;; [unrolled: 1-line block ×5, first 2 shown]
	v_mul_f64 v[46:47], v[44:45], s[14:15]
	v_mul_f64 v[48:49], v[44:45], s[16:17]
	v_fmac_f64_e32 v[50:51], s[14:15], v[138:139]
	v_fmac_f64_e32 v[52:53], s[6:7], v[170:171]
	;; [unrolled: 1-line block ×15, first 2 shown]
	v_mul_f64 v[58:59], v[158:159], s[12:13]
	v_mul_f64 v[60:61], v[158:159], s[8:9]
	v_fmac_f64_e32 v[40:41], s[8:9], v[54:55]
	v_fmac_f64_e32 v[56:57], s[14:15], v[170:171]
	;; [unrolled: 1-line block ×3, first 2 shown]
	v_mul_f64 v[54:55], v[146:147], s[14:15]
	v_mul_f64 v[66:67], v[146:147], s[20:21]
	v_add_f64 v[122:123], v[140:141], v[134:135]
	v_add_f64 v[124:125], v[162:163], v[136:137]
	;; [unrolled: 1-line block ×4, first 2 shown]
	v_add_f64 v[46:47], v[50:51], -v[46:47]
	v_fmac_f64_e32 v[166:167], s[8:9], v[70:71]
	v_fmac_f64_e32 v[172:173], s[8:9], v[126:127]
	;; [unrolled: 1-line block ×7, first 2 shown]
	v_add_f64 v[134:135], v[140:141], -v[134:135]
	v_add_f64 v[136:137], v[162:163], -v[136:137]
	;; [unrolled: 1-line block ×3, first 2 shown]
	v_add_f64 v[50:51], v[166:167], v[58:59]
	v_add_f64 v[52:53], v[172:173], v[60:61]
	v_add_f64 v[58:59], v[166:167], -v[58:59]
	v_add_f64 v[60:61], v[172:173], -v[60:61]
	v_add_f64 v[62:63], v[40:41], v[54:55]
	v_add_f64 v[64:65], v[56:57], v[66:67]
	v_add_f64 v[54:55], v[40:41], -v[54:55]
	v_add_f64 v[56:57], v[56:57], -v[66:67]
	s_barrier
	ds_write_b128 v131, v[122:125]
	ds_write_b128 v131, v[42:45] offset:160
	ds_write_b128 v131, v[50:53] offset:320
	;; [unrolled: 1-line block ×9, first 2 shown]
	s_waitcnt lgkmcnt(0)
	s_barrier
	ds_read_b128 v[44:47], v128 offset:1600
	ds_read_b128 v[40:43], v128
	ds_read_b128 v[48:51], v128 offset:3200
	ds_read_b128 v[58:61], v128 offset:8000
	;; [unrolled: 1-line block ×3, first 2 shown]
	s_waitcnt lgkmcnt(4)
	v_mul_f64 v[112:113], v[78:79], v[46:47]
	v_fmac_f64_e32 v[112:113], v[76:77], v[44:45]
	v_mul_f64 v[44:45], v[78:79], v[44:45]
	v_fma_f64 v[114:115], v[76:77], v[46:47], -v[44:45]
	ds_read_b128 v[44:47], v128 offset:4800
	s_waitcnt lgkmcnt(3)
	v_mul_f64 v[66:67], v[82:83], v[50:51]
	v_fmac_f64_e32 v[66:67], v[80:81], v[48:49]
	v_mul_f64 v[48:49], v[82:83], v[48:49]
	v_fma_f64 v[56:57], v[80:81], v[50:51], -v[48:49]
	ds_read_b128 v[78:81], v128 offset:11200
	ds_read_b128 v[50:53], v128 offset:6400
	s_waitcnt lgkmcnt(2)
	v_mul_f64 v[48:49], v[86:87], v[46:47]
	v_fmac_f64_e32 v[48:49], v[84:85], v[44:45]
	v_mul_f64 v[44:45], v[86:87], v[44:45]
	v_fma_f64 v[46:47], v[84:85], v[46:47], -v[44:45]
	s_waitcnt lgkmcnt(0)
	v_mul_f64 v[72:73], v[90:91], v[52:53]
	v_mul_f64 v[44:45], v[90:91], v[50:51]
	ds_read_b128 v[82:85], v128 offset:12800
	v_fmac_f64_e32 v[72:73], v[88:89], v[50:51]
	v_fma_f64 v[64:65], v[88:89], v[52:53], -v[44:45]
	ds_read_b128 v[86:89], v128 offset:14400
	v_mul_f64 v[44:45], v[94:95], v[58:59]
	v_fma_f64 v[50:51], v[92:93], v[60:61], -v[44:45]
	v_mul_f64 v[44:45], v[98:99], v[68:69]
	v_mul_f64 v[54:55], v[94:95], v[60:61]
	;; [unrolled: 1-line block ×3, first 2 shown]
	v_fma_f64 v[70:71], v[96:97], v[70:71], -v[44:45]
	v_mul_f64 v[60:61], v[102:103], v[80:81]
	v_mul_f64 v[44:45], v[102:103], v[78:79]
	v_fmac_f64_e32 v[60:61], v[100:101], v[78:79]
	v_fma_f64 v[52:53], v[100:101], v[80:81], -v[44:45]
	s_waitcnt lgkmcnt(1)
	v_mul_f64 v[78:79], v[106:107], v[84:85]
	v_mul_f64 v[44:45], v[106:107], v[82:83]
	v_fmac_f64_e32 v[76:77], v[96:97], v[68:69]
	v_fmac_f64_e32 v[78:79], v[104:105], v[82:83]
	v_fma_f64 v[74:75], v[104:105], v[84:85], -v[44:45]
	s_waitcnt lgkmcnt(0)
	v_mul_f64 v[44:45], v[110:111], v[86:87]
	v_fmac_f64_e32 v[54:55], v[92:93], v[58:59]
	v_fma_f64 v[58:59], v[108:109], v[88:89], -v[44:45]
	v_add_f64 v[44:45], v[72:73], v[76:77]
	v_add_f64 v[62:63], v[66:67], v[78:79]
	v_mul_f64 v[68:69], v[110:111], v[88:89]
	v_add_f64 v[80:81], v[40:41], v[66:67]
	v_fma_f64 v[44:45], -0.5, v[44:45], v[40:41]
	v_fmac_f64_e32 v[40:41], -0.5, v[62:63]
	v_add_f64 v[62:63], v[72:73], -v[66:67]
	v_add_f64 v[82:83], v[76:77], -v[78:79]
	v_fmac_f64_e32 v[68:69], v[108:109], v[86:87]
	v_add_f64 v[86:87], v[62:63], v[82:83]
	v_add_f64 v[62:63], v[64:65], v[70:71]
	v_add_f64 v[82:83], v[56:57], v[74:75]
	v_fma_f64 v[62:63], -0.5, v[62:63], v[42:43]
	v_add_f64 v[88:89], v[42:43], v[56:57]
	v_fmac_f64_e32 v[42:43], -0.5, v[82:83]
	v_add_f64 v[82:83], v[64:65], -v[56:57]
	v_add_f64 v[84:85], v[70:71], -v[74:75]
	v_add_f64 v[90:91], v[82:83], v[84:85]
	v_add_f64 v[82:83], v[54:55], v[60:61]
	v_fma_f64 v[92:93], -0.5, v[82:83], v[112:113]
	v_add_f64 v[82:83], v[48:49], v[68:69]
	v_add_f64 v[94:95], v[112:113], v[48:49]
	v_fmac_f64_e32 v[112:113], -0.5, v[82:83]
	v_add_f64 v[82:83], v[54:55], -v[48:49]
	v_add_f64 v[84:85], v[60:61], -v[68:69]
	v_add_f64 v[96:97], v[82:83], v[84:85]
	v_add_f64 v[82:83], v[50:51], v[52:53]
	v_fma_f64 v[98:99], -0.5, v[82:83], v[114:115]
	v_add_f64 v[82:83], v[46:47], v[58:59]
	v_add_f64 v[100:101], v[114:115], v[46:47]
	v_fmac_f64_e32 v[114:115], -0.5, v[82:83]
	v_add_f64 v[110:111], v[54:55], -v[60:61]
	v_add_f64 v[82:83], v[50:51], -v[46:47]
	;; [unrolled: 1-line block ×4, first 2 shown]
	v_fma_f64 v[116:117], s[12:13], v[110:111], v[114:115]
	v_fmac_f64_e32 v[114:115], s[2:3], v[110:111]
	v_add_f64 v[118:119], v[48:49], -v[68:69]
	v_add_f64 v[102:103], v[82:83], v[84:85]
	v_fma_f64 v[106:107], s[2:3], v[104:105], v[112:113]
	v_fmac_f64_e32 v[112:113], s[12:13], v[104:105]
	v_add_f64 v[108:109], v[46:47], -v[58:59]
	v_fmac_f64_e32 v[114:115], s[14:15], v[118:119]
	v_fmac_f64_e32 v[112:113], s[6:7], v[108:109]
	;; [unrolled: 1-line block ×3, first 2 shown]
	v_add_f64 v[80:81], v[80:81], v[72:73]
	v_fmac_f64_e32 v[112:113], s[8:9], v[96:97]
	v_mul_f64 v[120:121], v[114:115], s[12:13]
	v_mul_f64 v[114:115], v[114:115], s[18:19]
	v_add_f64 v[124:125], v[56:57], -v[74:75]
	v_add_f64 v[126:127], v[72:73], -v[76:77]
	;; [unrolled: 1-line block ×4, first 2 shown]
	v_add_f64 v[72:73], v[80:81], v[76:77]
	v_add_f64 v[76:77], v[78:79], -v[76:77]
	v_fmac_f64_e32 v[120:121], s[18:19], v[112:113]
	v_fmac_f64_e32 v[114:115], s[2:3], v[112:113]
	v_add_f64 v[112:113], v[64:65], -v[70:71]
	v_add_f64 v[66:67], v[66:67], v[76:77]
	v_fma_f64 v[76:77], s[12:13], v[124:125], v[44:45]
	v_fmac_f64_e32 v[44:45], s[2:3], v[124:125]
	v_fmac_f64_e32 v[76:77], s[14:15], v[112:113]
	;; [unrolled: 1-line block ×5, first 2 shown]
	v_add_f64 v[66:67], v[88:89], v[64:65]
	v_add_f64 v[56:57], v[56:57], -v[64:65]
	v_add_f64 v[64:65], v[66:67], v[70:71]
	v_add_f64 v[66:67], v[74:75], -v[70:71]
	v_add_f64 v[56:57], v[56:57], v[66:67]
	v_fma_f64 v[66:67], s[2:3], v[136:137], v[62:63]
	v_fmac_f64_e32 v[62:63], s[12:13], v[136:137]
	v_fmac_f64_e32 v[66:67], s[6:7], v[126:127]
	;; [unrolled: 1-line block ×5, first 2 shown]
	v_add_f64 v[56:57], v[94:95], v[54:55]
	v_add_f64 v[48:49], v[48:49], -v[54:55]
	v_add_f64 v[54:55], v[56:57], v[60:61]
	v_add_f64 v[56:57], v[68:69], -v[60:61]
	v_add_f64 v[48:49], v[48:49], v[56:57]
	v_fma_f64 v[56:57], s[12:13], v[108:109], v[92:93]
	v_fmac_f64_e32 v[92:93], s[2:3], v[108:109]
	v_fmac_f64_e32 v[56:57], s[14:15], v[104:105]
	;; [unrolled: 1-line block ×5, first 2 shown]
	v_add_f64 v[48:49], v[100:101], v[50:51]
	v_add_f64 v[48:49], v[48:49], v[52:53]
	v_add_f64 v[46:47], v[46:47], -v[50:51]
	v_add_f64 v[60:61], v[48:49], v[58:59]
	v_add_f64 v[48:49], v[58:59], -v[52:53]
	v_add_f64 v[46:47], v[46:47], v[48:49]
	v_fma_f64 v[48:49], s[2:3], v[118:119], v[98:99]
	v_fmac_f64_e32 v[98:99], s[12:13], v[118:119]
	v_fma_f64 v[122:123], s[2:3], v[112:113], v[40:41]
	v_fmac_f64_e32 v[40:41], s[12:13], v[112:113]
	;; [unrolled: 2-line block ×3, first 2 shown]
	v_fmac_f64_e32 v[48:49], s[6:7], v[110:111]
	v_fmac_f64_e32 v[98:99], s[14:15], v[110:111]
	;; [unrolled: 1-line block ×11, first 2 shown]
	v_add_f64 v[72:73], v[72:73], v[78:79]
	v_fmac_f64_e32 v[122:123], s[14:15], v[124:125]
	v_add_f64 v[64:65], v[64:65], v[74:75]
	v_fmac_f64_e32 v[134:135], s[6:7], v[136:137]
	;; [unrolled: 2-line block ×3, first 2 shown]
	v_mul_f64 v[58:59], v[48:49], s[14:15]
	v_mul_f64 v[68:69], v[116:117], s[12:13]
	;; [unrolled: 1-line block ×6, first 2 shown]
	v_add_f64 v[82:83], v[40:41], v[120:121]
	v_add_f64 v[84:85], v[42:43], v[114:115]
	v_add_f64 v[40:41], v[40:41], -v[120:121]
	v_add_f64 v[42:43], v[42:43], -v[114:115]
	v_fmac_f64_e32 v[122:123], s[8:9], v[86:87]
	v_fmac_f64_e32 v[134:135], s[8:9], v[90:91]
	;; [unrolled: 1-line block ×8, first 2 shown]
	v_add_f64 v[46:47], v[72:73], v[54:55]
	v_add_f64 v[48:49], v[64:65], v[60:61]
	v_add_f64 v[50:51], v[72:73], -v[54:55]
	v_add_f64 v[52:53], v[64:65], -v[60:61]
	v_add_f64 v[54:55], v[76:77], v[58:59]
	v_add_f64 v[56:57], v[66:67], v[70:71]
	v_add_f64 v[58:59], v[76:77], -v[58:59]
	v_add_f64 v[60:61], v[66:67], -v[70:71]
	;; [unrolled: 4-line block ×4, first 2 shown]
	ds_write_b128 v128, v[46:49]
	ds_write_b128 v128, v[54:57] offset:1600
	ds_write_b128 v128, v[64:67] offset:3200
	;; [unrolled: 1-line block ×9, first 2 shown]
	s_waitcnt lgkmcnt(0)
	s_barrier
	ds_read_b128 v[40:43], v128
	ds_read_b128 v[44:47], v128 offset:1600
	v_mov_b32_e32 v52, s0
	v_mov_b32_e32 v53, s1
	s_mov_b32 s0, 0xd2f1a9fc
	s_waitcnt lgkmcnt(1)
	v_mul_f64 v[48:49], v[38:39], v[42:43]
	v_mul_f64 v[38:39], v[38:39], v[40:41]
	v_fmac_f64_e32 v[48:49], v[36:37], v[40:41]
	s_mov_b32 s1, 0x3f50624d
	v_fma_f64 v[36:37], v[36:37], v[42:43], -v[38:39]
	v_mul_f64 v[50:51], v[36:37], s[0:1]
	v_mad_u64_u32 v[36:37], s[2:3], s4, v164, 0
	v_mov_b32_e32 v38, v37
	v_mov_b32_e32 v131, v132
	v_mad_u64_u32 v[38:39], s[2:3], s5, v164, v[38:39]
	v_mov_b32_e32 v37, v38
	v_lshl_add_u64 v[38:39], v[130:131], 4, v[52:53]
	v_lshl_add_u64 v[40:41], v[36:37], 4, v[38:39]
	s_waitcnt lgkmcnt(0)
	v_mul_f64 v[36:37], v[34:35], v[46:47]
	v_mul_f64 v[34:35], v[34:35], v[44:45]
	v_fmac_f64_e32 v[36:37], v[32:33], v[44:45]
	v_fma_f64 v[32:33], v[32:33], v[46:47], -v[34:35]
	v_mad_u64_u32 v[44:45], s[2:3], s4, v133, v[40:41]
	v_mul_f64 v[38:39], v[32:33], s[0:1]
	ds_read_b128 v[32:35], v128 offset:3200
	s_mul_i32 s2, s5, 0x640
	v_mul_f64 v[48:49], v[48:49], s[0:1]
	v_mul_f64 v[36:37], v[36:37], s[0:1]
	v_add_u32_e32 v45, s2, v45
	global_store_dwordx4 v[40:41], v[48:51], off
	global_store_dwordx4 v[44:45], v[36:39], off
	ds_read_b128 v[36:39], v128 offset:4800
	s_waitcnt lgkmcnt(1)
	v_mul_f64 v[40:41], v[26:27], v[34:35]
	v_mul_f64 v[26:27], v[26:27], v[32:33]
	v_fmac_f64_e32 v[40:41], v[24:25], v[32:33]
	v_fma_f64 v[24:25], v[24:25], v[34:35], -v[26:27]
	v_mad_u64_u32 v[32:33], s[6:7], s4, v133, v[44:45]
	v_mul_f64 v[42:43], v[24:25], s[0:1]
	v_add_u32_e32 v33, s2, v33
	s_waitcnt lgkmcnt(0)
	v_mul_f64 v[24:25], v[30:31], v[38:39]
	v_mul_f64 v[26:27], v[30:31], v[36:37]
	v_fmac_f64_e32 v[24:25], v[28:29], v[36:37]
	v_fma_f64 v[26:27], v[28:29], v[38:39], -v[26:27]
	ds_read_b128 v[28:31], v128 offset:6400
	v_mad_u64_u32 v[36:37], s[6:7], s4, v133, v[32:33]
	v_mul_f64 v[40:41], v[40:41], s[0:1]
	v_mul_f64 v[24:25], v[24:25], s[0:1]
	;; [unrolled: 1-line block ×3, first 2 shown]
	v_add_u32_e32 v37, s2, v37
	global_store_dwordx4 v[32:33], v[40:43], off
	global_store_dwordx4 v[36:37], v[24:27], off
	ds_read_b128 v[24:27], v128 offset:8000
	s_waitcnt lgkmcnt(1)
	v_mul_f64 v[32:33], v[22:23], v[30:31]
	v_mul_f64 v[22:23], v[22:23], v[28:29]
	v_fmac_f64_e32 v[32:33], v[20:21], v[28:29]
	v_fma_f64 v[20:21], v[20:21], v[30:31], -v[22:23]
	v_mul_f64 v[34:35], v[20:21], s[0:1]
	v_mad_u64_u32 v[28:29], s[6:7], s4, v133, v[36:37]
	s_waitcnt lgkmcnt(0)
	v_mul_f64 v[20:21], v[18:19], v[26:27]
	v_mul_f64 v[18:19], v[18:19], v[24:25]
	;; [unrolled: 1-line block ×3, first 2 shown]
	v_add_u32_e32 v29, s2, v29
	v_fmac_f64_e32 v[20:21], v[16:17], v[24:25]
	v_fma_f64 v[16:17], v[16:17], v[26:27], -v[18:19]
	global_store_dwordx4 v[28:29], v[32:35], off
	v_mul_f64 v[22:23], v[16:17], s[0:1]
	ds_read_b128 v[16:19], v128 offset:9600
	v_mad_u64_u32 v[28:29], s[6:7], s4, v133, v[28:29]
	v_mul_f64 v[20:21], v[20:21], s[0:1]
	v_add_u32_e32 v29, s2, v29
	global_store_dwordx4 v[28:29], v[20:23], off
	ds_read_b128 v[20:23], v128 offset:11200
	s_waitcnt lgkmcnt(1)
	v_mul_f64 v[24:25], v[14:15], v[18:19]
	v_mul_f64 v[14:15], v[14:15], v[16:17]
	v_fmac_f64_e32 v[24:25], v[12:13], v[16:17]
	v_fma_f64 v[12:13], v[12:13], v[18:19], -v[14:15]
	v_mul_f64 v[26:27], v[12:13], s[0:1]
	v_mad_u64_u32 v[16:17], s[6:7], s4, v133, v[28:29]
	s_waitcnt lgkmcnt(0)
	v_mul_f64 v[12:13], v[10:11], v[22:23]
	v_mul_f64 v[10:11], v[10:11], v[20:21]
	v_add_u32_e32 v17, s2, v17
	v_fmac_f64_e32 v[12:13], v[8:9], v[20:21]
	v_fma_f64 v[8:9], v[8:9], v[22:23], -v[10:11]
	v_mul_f64 v[14:15], v[8:9], s[0:1]
	ds_read_b128 v[8:11], v128 offset:12800
	v_mad_u64_u32 v[20:21], s[6:7], s4, v133, v[16:17]
	v_mul_f64 v[24:25], v[24:25], s[0:1]
	v_mul_f64 v[12:13], v[12:13], s[0:1]
	v_add_u32_e32 v21, s2, v21
	global_store_dwordx4 v[16:17], v[24:27], off
	global_store_dwordx4 v[20:21], v[12:15], off
	ds_read_b128 v[12:15], v128 offset:14400
	s_waitcnt lgkmcnt(1)
	v_mul_f64 v[16:17], v[2:3], v[10:11]
	v_mul_f64 v[2:3], v[2:3], v[8:9]
	v_fmac_f64_e32 v[16:17], v[0:1], v[8:9]
	v_fma_f64 v[0:1], v[0:1], v[10:11], -v[2:3]
	v_mul_f64 v[18:19], v[0:1], s[0:1]
	v_mad_u64_u32 v[8:9], s[6:7], s4, v133, v[20:21]
	s_waitcnt lgkmcnt(0)
	v_mul_f64 v[0:1], v[6:7], v[14:15]
	v_mul_f64 v[2:3], v[6:7], v[12:13]
	v_add_u32_e32 v9, s2, v9
	v_fmac_f64_e32 v[0:1], v[4:5], v[12:13]
	v_fma_f64 v[2:3], v[4:5], v[14:15], -v[2:3]
	v_mul_f64 v[16:17], v[16:17], s[0:1]
	v_mul_f64 v[0:1], v[0:1], s[0:1]
	;; [unrolled: 1-line block ×3, first 2 shown]
	v_mad_u64_u32 v[4:5], s[0:1], s4, v133, v[8:9]
	v_add_u32_e32 v5, s2, v5
	global_store_dwordx4 v[8:9], v[16:19], off
	global_store_dwordx4 v[4:5], v[0:3], off
.LBB0_2:
	s_endpgm
	.section	.rodata,"a",@progbits
	.p2align	6, 0x0
	.amdhsa_kernel bluestein_single_fwd_len1000_dim1_dp_op_CI_CI
		.amdhsa_group_segment_fixed_size 16000
		.amdhsa_private_segment_fixed_size 0
		.amdhsa_kernarg_size 104
		.amdhsa_user_sgpr_count 2
		.amdhsa_user_sgpr_dispatch_ptr 0
		.amdhsa_user_sgpr_queue_ptr 0
		.amdhsa_user_sgpr_kernarg_segment_ptr 1
		.amdhsa_user_sgpr_dispatch_id 0
		.amdhsa_user_sgpr_kernarg_preload_length 0
		.amdhsa_user_sgpr_kernarg_preload_offset 0
		.amdhsa_user_sgpr_private_segment_size 0
		.amdhsa_uses_dynamic_stack 0
		.amdhsa_enable_private_segment 0
		.amdhsa_system_sgpr_workgroup_id_x 1
		.amdhsa_system_sgpr_workgroup_id_y 0
		.amdhsa_system_sgpr_workgroup_id_z 0
		.amdhsa_system_sgpr_workgroup_info 0
		.amdhsa_system_vgpr_workitem_id 0
		.amdhsa_next_free_vgpr 218
		.amdhsa_next_free_sgpr 23
		.amdhsa_accum_offset 220
		.amdhsa_reserve_vcc 1
		.amdhsa_float_round_mode_32 0
		.amdhsa_float_round_mode_16_64 0
		.amdhsa_float_denorm_mode_32 3
		.amdhsa_float_denorm_mode_16_64 3
		.amdhsa_dx10_clamp 1
		.amdhsa_ieee_mode 1
		.amdhsa_fp16_overflow 0
		.amdhsa_tg_split 0
		.amdhsa_exception_fp_ieee_invalid_op 0
		.amdhsa_exception_fp_denorm_src 0
		.amdhsa_exception_fp_ieee_div_zero 0
		.amdhsa_exception_fp_ieee_overflow 0
		.amdhsa_exception_fp_ieee_underflow 0
		.amdhsa_exception_fp_ieee_inexact 0
		.amdhsa_exception_int_div_zero 0
	.end_amdhsa_kernel
	.text
.Lfunc_end0:
	.size	bluestein_single_fwd_len1000_dim1_dp_op_CI_CI, .Lfunc_end0-bluestein_single_fwd_len1000_dim1_dp_op_CI_CI
                                        ; -- End function
	.section	.AMDGPU.csdata,"",@progbits
; Kernel info:
; codeLenInByte = 10812
; NumSgprs: 29
; NumVgprs: 218
; NumAgprs: 0
; TotalNumVgprs: 218
; ScratchSize: 0
; MemoryBound: 0
; FloatMode: 240
; IeeeMode: 1
; LDSByteSize: 16000 bytes/workgroup (compile time only)
; SGPRBlocks: 3
; VGPRBlocks: 27
; NumSGPRsForWavesPerEU: 29
; NumVGPRsForWavesPerEU: 218
; AccumOffset: 220
; Occupancy: 2
; WaveLimiterHint : 1
; COMPUTE_PGM_RSRC2:SCRATCH_EN: 0
; COMPUTE_PGM_RSRC2:USER_SGPR: 2
; COMPUTE_PGM_RSRC2:TRAP_HANDLER: 0
; COMPUTE_PGM_RSRC2:TGID_X_EN: 1
; COMPUTE_PGM_RSRC2:TGID_Y_EN: 0
; COMPUTE_PGM_RSRC2:TGID_Z_EN: 0
; COMPUTE_PGM_RSRC2:TIDIG_COMP_CNT: 0
; COMPUTE_PGM_RSRC3_GFX90A:ACCUM_OFFSET: 54
; COMPUTE_PGM_RSRC3_GFX90A:TG_SPLIT: 0
	.text
	.p2alignl 6, 3212836864
	.fill 256, 4, 3212836864
	.type	__hip_cuid_73720e091e11619b,@object ; @__hip_cuid_73720e091e11619b
	.section	.bss,"aw",@nobits
	.globl	__hip_cuid_73720e091e11619b
__hip_cuid_73720e091e11619b:
	.byte	0                               ; 0x0
	.size	__hip_cuid_73720e091e11619b, 1

	.ident	"AMD clang version 19.0.0git (https://github.com/RadeonOpenCompute/llvm-project roc-6.4.0 25133 c7fe45cf4b819c5991fe208aaa96edf142730f1d)"
	.section	".note.GNU-stack","",@progbits
	.addrsig
	.addrsig_sym __hip_cuid_73720e091e11619b
	.amdgpu_metadata
---
amdhsa.kernels:
  - .agpr_count:     0
    .args:
      - .actual_access:  read_only
        .address_space:  global
        .offset:         0
        .size:           8
        .value_kind:     global_buffer
      - .actual_access:  read_only
        .address_space:  global
        .offset:         8
        .size:           8
        .value_kind:     global_buffer
      - .actual_access:  read_only
        .address_space:  global
        .offset:         16
        .size:           8
        .value_kind:     global_buffer
      - .actual_access:  read_only
        .address_space:  global
        .offset:         24
        .size:           8
        .value_kind:     global_buffer
      - .actual_access:  read_only
        .address_space:  global
        .offset:         32
        .size:           8
        .value_kind:     global_buffer
      - .offset:         40
        .size:           8
        .value_kind:     by_value
      - .address_space:  global
        .offset:         48
        .size:           8
        .value_kind:     global_buffer
      - .address_space:  global
        .offset:         56
        .size:           8
        .value_kind:     global_buffer
      - .address_space:  global
        .offset:         64
        .size:           8
        .value_kind:     global_buffer
      - .address_space:  global
        .offset:         72
        .size:           8
        .value_kind:     global_buffer
      - .offset:         80
        .size:           4
        .value_kind:     by_value
      - .address_space:  global
        .offset:         88
        .size:           8
        .value_kind:     global_buffer
      - .address_space:  global
        .offset:         96
        .size:           8
        .value_kind:     global_buffer
    .group_segment_fixed_size: 16000
    .kernarg_segment_align: 8
    .kernarg_segment_size: 104
    .language:       OpenCL C
    .language_version:
      - 2
      - 0
    .max_flat_workgroup_size: 100
    .name:           bluestein_single_fwd_len1000_dim1_dp_op_CI_CI
    .private_segment_fixed_size: 0
    .sgpr_count:     29
    .sgpr_spill_count: 0
    .symbol:         bluestein_single_fwd_len1000_dim1_dp_op_CI_CI.kd
    .uniform_work_group_size: 1
    .uses_dynamic_stack: false
    .vgpr_count:     218
    .vgpr_spill_count: 0
    .wavefront_size: 64
amdhsa.target:   amdgcn-amd-amdhsa--gfx950
amdhsa.version:
  - 1
  - 2
...

	.end_amdgpu_metadata
